;; amdgpu-corpus repo=ROCm/rocFFT kind=compiled arch=gfx950 opt=O3
	.text
	.amdgcn_target "amdgcn-amd-amdhsa--gfx950"
	.amdhsa_code_object_version 6
	.protected	bluestein_single_fwd_len40_dim1_dp_op_CI_CI ; -- Begin function bluestein_single_fwd_len40_dim1_dp_op_CI_CI
	.globl	bluestein_single_fwd_len40_dim1_dp_op_CI_CI
	.p2align	8
	.type	bluestein_single_fwd_len40_dim1_dp_op_CI_CI,@function
bluestein_single_fwd_len40_dim1_dp_op_CI_CI: ; @bluestein_single_fwd_len40_dim1_dp_op_CI_CI
; %bb.0:
	s_load_dwordx4 s[8:11], s[0:1], 0x28
	v_mul_u32_u24_e32 v1, 0x199a, v0
	v_lshrrev_b32_e32 v2, 16, v1
	v_mad_u64_u32 v[52:53], s[2:3], s2, 12, v[2:3]
	v_mov_b32_e32 v53, 0
	s_waitcnt lgkmcnt(0)
	v_cmp_gt_u64_e32 vcc, s[8:9], v[52:53]
	s_and_saveexec_b64 s[2:3], vcc
	s_cbranch_execz .LBB0_15
; %bb.1:
	v_mul_lo_u16_e32 v1, 10, v2
	s_mov_b32 s2, 0xaaaaaaab
	v_sub_u16_e32 v67, v0, v1
	v_mul_hi_u32 v0, v52, s2
	v_lshrrev_b32_e32 v0, 3, v0
	s_load_dwordx2 s[8:9], s[0:1], 0x0
	s_load_dwordx2 s[12:13], s[0:1], 0x38
	v_mul_lo_u32 v0, v0, 12
	v_sub_u32_e32 v0, v52, v0
	v_mul_u32_u24_e32 v60, 40, v0
	v_or_b32_e32 v0, v60, v67
	v_cmp_gt_u16_e32 vcc, 4, v67
	v_lshlrev_b32_e32 v71, 4, v67
	v_lshlrev_b32_e32 v72, 4, v0
	v_or_b32_e32 v68, 4, v67
	v_add_lshl_u32 v73, v60, v67, 4
	v_or_b32_e32 v69, 8, v67
	v_or_b32_e32 v70, 12, v67
	;; [unrolled: 1-line block ×8, first 2 shown]
	s_and_saveexec_b64 s[2:3], vcc
	s_cbranch_execz .LBB0_3
; %bb.2:
	s_load_dwordx2 s[4:5], s[0:1], 0x18
	v_mov_b32_e32 v0, s10
	v_mov_b32_e32 v1, s11
	s_waitcnt lgkmcnt(0)
	s_load_dwordx4 s[4:7], s[4:5], 0x0
	s_waitcnt lgkmcnt(0)
	v_mad_u64_u32 v[2:3], s[10:11], s6, v52, 0
	v_mov_b32_e32 v6, v3
	v_mad_u64_u32 v[6:7], s[6:7], s7, v52, v[6:7]
	v_mad_u64_u32 v[4:5], s[10:11], s4, v67, 0
	v_mov_b32_e32 v3, v6
	v_mov_b32_e32 v8, v5
	v_lshl_add_u64 v[28:29], v[2:3], 4, v[0:1]
	v_mad_u64_u32 v[0:1], s[6:7], s4, v68, 0
	v_mad_u64_u32 v[6:7], s[6:7], s5, v67, v[8:9]
	v_mov_b32_e32 v2, v1
	v_mov_b32_e32 v5, v6
	v_mad_u64_u32 v[2:3], s[6:7], s5, v68, v[2:3]
	v_lshl_add_u64 v[16:17], v[4:5], 4, v[28:29]
	v_mov_b32_e32 v1, v2
	v_lshl_add_u64 v[18:19], v[0:1], 4, v[28:29]
	global_load_dwordx4 v[0:3], v71, s[8:9]
	global_load_dwordx4 v[4:7], v71, s[8:9] offset:64
	global_load_dwordx4 v[12:15], v[16:17], off
	global_load_dwordx4 v[8:11], v[18:19], off
	v_mad_u64_u32 v[16:17], s[6:7], s4, v69, 0
	v_mov_b32_e32 v18, v17
	v_mad_u64_u32 v[34:35], s[6:7], s4, v70, 0
	v_mad_u64_u32 v[18:19], s[6:7], s5, v69, v[18:19]
	v_mov_b32_e32 v36, v35
	v_mov_b32_e32 v17, v18
	v_mad_u64_u32 v[44:45], s[6:7], s4, v66, 0
	v_mad_u64_u32 v[36:37], s[6:7], s5, v70, v[36:37]
	v_lshl_add_u64 v[42:43], v[16:17], 4, v[28:29]
	v_mad_u64_u32 v[46:47], s[6:7], s4, v65, 0
	v_mov_b32_e32 v48, v45
	v_mov_b32_e32 v35, v36
	global_load_dwordx4 v[16:19], v71, s[8:9] offset:128
	global_load_dwordx4 v[20:23], v71, s[8:9] offset:192
	;; [unrolled: 1-line block ×4, first 2 shown]
	v_mov_b32_e32 v50, v47
	v_lshl_add_u64 v[54:55], v[34:35], 4, v[28:29]
	global_load_dwordx4 v[34:37], v[42:43], off
	global_load_dwordx4 v[38:41], v[54:55], off
	v_mad_u64_u32 v[42:43], s[6:7], s5, v66, v[48:49]
	v_mad_u64_u32 v[48:49], s[6:7], s5, v65, v[50:51]
	v_mov_b32_e32 v45, v42
	v_mov_b32_e32 v47, v48
	v_lshl_add_u64 v[50:51], v[44:45], 4, v[28:29]
	v_lshl_add_u64 v[54:55], v[46:47], 4, v[28:29]
	global_load_dwordx4 v[42:45], v[50:51], off
	global_load_dwordx4 v[46:49], v[54:55], off
	v_mad_u64_u32 v[50:51], s[6:7], s4, v64, 0
	v_mov_b32_e32 v54, v51
	v_mad_u64_u32 v[54:55], s[6:7], s5, v64, v[54:55]
	v_mov_b32_e32 v51, v54
	;; [unrolled: 2-line block ×3, first 2 shown]
	v_mad_u64_u32 v[56:57], s[6:7], s5, v63, v[56:57]
	v_lshl_add_u64 v[50:51], v[50:51], 4, v[28:29]
	v_mov_b32_e32 v55, v56
	v_lshl_add_u64 v[58:59], v[54:55], 4, v[28:29]
	global_load_dwordx4 v[54:57], v[50:51], off
	global_load_dwordx4 v[74:77], v[58:59], off
	global_load_dwordx4 v[78:81], v71, s[8:9] offset:384
	global_load_dwordx4 v[82:85], v71, s[8:9] offset:448
	v_mad_u64_u32 v[50:51], s[6:7], s4, v62, 0
	v_mov_b32_e32 v58, v51
	v_mad_u64_u32 v[58:59], s[6:7], s5, v62, v[58:59]
	v_mov_b32_e32 v51, v58
	v_mad_u64_u32 v[58:59], s[6:7], s4, v53, 0
	v_lshl_add_u64 v[50:51], v[50:51], 4, v[28:29]
	v_mov_b32_e32 v94, v59
	global_load_dwordx4 v[90:93], v[50:51], off
	v_mad_u64_u32 v[50:51], s[4:5], s5, v53, v[94:95]
	global_load_dwordx4 v[86:89], v71, s[8:9] offset:512
	v_mov_b32_e32 v59, v50
	v_lshl_add_u64 v[28:29], v[58:59], 4, v[28:29]
	global_load_dwordx4 v[94:97], v[28:29], off
	global_load_dwordx4 v[98:101], v71, s[8:9] offset:576
	s_waitcnt vmcnt(17)
	v_mul_f64 v[28:29], v[12:13], v[2:3]
	v_mul_f64 v[102:103], v[14:15], v[2:3]
	v_fma_f64 v[104:105], v[14:15], v[0:1], -v[28:29]
	v_fmac_f64_e32 v[102:103], v[12:13], v[0:1]
	s_waitcnt vmcnt(16)
	v_mul_f64 v[0:1], v[8:9], v[6:7]
	v_fma_f64 v[2:3], v[10:11], v[4:5], -v[0:1]
	v_mul_f64 v[0:1], v[10:11], v[6:7]
	v_fmac_f64_e32 v[0:1], v[8:9], v[4:5]
	v_lshl_add_u32 v28, v60, 4, v71
	s_waitcnt vmcnt(11)
	v_mul_f64 v[4:5], v[34:35], v[18:19]
	v_fma_f64 v[6:7], v[36:37], v[16:17], -v[4:5]
	v_mul_f64 v[4:5], v[36:37], v[18:19]
	s_waitcnt vmcnt(10)
	v_mul_f64 v[8:9], v[38:39], v[22:23]
	v_fmac_f64_e32 v[4:5], v[34:35], v[16:17]
	v_fma_f64 v[10:11], v[40:41], v[20:21], -v[8:9]
	v_mul_f64 v[8:9], v[40:41], v[22:23]
	v_fmac_f64_e32 v[8:9], v[38:39], v[20:21]
	s_waitcnt vmcnt(9)
	v_mul_f64 v[12:13], v[42:43], v[26:27]
	v_fma_f64 v[14:15], v[44:45], v[24:25], -v[12:13]
	v_mul_f64 v[12:13], v[44:45], v[26:27]
	s_waitcnt vmcnt(8)
	v_mul_f64 v[16:17], v[48:49], v[32:33]
	v_mul_f64 v[18:19], v[46:47], v[32:33]
	v_fmac_f64_e32 v[12:13], v[42:43], v[24:25]
	v_fmac_f64_e32 v[16:17], v[46:47], v[30:31]
	v_fma_f64 v[18:19], v[48:49], v[30:31], -v[18:19]
	ds_write_b128 v72, v[102:105]
	ds_write_b128 v73, v[0:3] offset:64
	ds_write_b128 v28, v[4:7] offset:128
	;; [unrolled: 1-line block ×5, first 2 shown]
	s_waitcnt vmcnt(5)
	v_mul_f64 v[0:1], v[56:57], v[80:81]
	v_mul_f64 v[2:3], v[54:55], v[80:81]
	v_fmac_f64_e32 v[0:1], v[54:55], v[78:79]
	v_fma_f64 v[2:3], v[56:57], v[78:79], -v[2:3]
	ds_write_b128 v28, v[0:3] offset:384
	s_waitcnt vmcnt(4)
	v_mul_f64 v[0:1], v[76:77], v[84:85]
	v_mul_f64 v[2:3], v[74:75], v[84:85]
	v_fmac_f64_e32 v[0:1], v[74:75], v[82:83]
	v_fma_f64 v[2:3], v[76:77], v[82:83], -v[2:3]
	ds_write_b128 v28, v[0:3] offset:448
	;; [unrolled: 6-line block ×4, first 2 shown]
.LBB0_3:
	s_or_b64 exec, exec, s[2:3]
	s_load_dwordx2 s[2:3], s[0:1], 0x20
	s_load_dwordx2 s[4:5], s[0:1], 0x8
	v_lshlrev_b32_e32 v75, 4, v60
	s_waitcnt lgkmcnt(0)
	s_barrier
	s_waitcnt lgkmcnt(0)
                                        ; implicit-def: $vgpr14_vgpr15
                                        ; implicit-def: $vgpr30_vgpr31
                                        ; implicit-def: $vgpr10_vgpr11
                                        ; implicit-def: $vgpr2_vgpr3
                                        ; implicit-def: $vgpr32_vgpr33
                                        ; implicit-def: $vgpr16_vgpr17
                                        ; implicit-def: $vgpr36_vgpr37
                                        ; implicit-def: $vgpr20_vgpr21
                                        ; implicit-def: $vgpr24_vgpr25
                                        ; implicit-def: $vgpr4_vgpr5
	s_and_saveexec_b64 s[0:1], vcc
	s_cbranch_execz .LBB0_5
; %bb.4:
	v_lshl_add_u32 v20, v67, 4, v75
	ds_read_b128 v[0:3], v72
	ds_read_b128 v[4:7], v72 offset:64
	ds_read_b128 v[24:27], v20 offset:128
	;; [unrolled: 1-line block ×9, first 2 shown]
.LBB0_5:
	s_or_b64 exec, exec, s[0:1]
	s_waitcnt lgkmcnt(3)
	v_add_f64 v[40:41], v[28:29], v[32:33]
	s_mov_b32 s0, 0x134454ff
	v_fma_f64 v[76:77], -0.5, v[40:41], v[0:1]
	s_waitcnt lgkmcnt(1)
	v_add_f64 v[44:45], v[26:27], -v[38:39]
	s_mov_b32 s1, 0x3fee6f0e
	s_mov_b32 s6, 0x4755a5e
	;; [unrolled: 1-line block ×4, first 2 shown]
	v_fma_f64 v[40:41], s[0:1], v[44:45], v[76:77]
	v_add_f64 v[48:49], v[30:31], -v[34:35]
	s_mov_b32 s7, 0x3fe2cf23
	v_add_f64 v[42:43], v[24:25], -v[28:29]
	v_add_f64 v[50:51], v[36:37], -v[32:33]
	s_mov_b32 s10, 0x372fe950
	v_fmac_f64_e32 v[76:77], s[14:15], v[44:45]
	s_mov_b32 s17, 0xbfe2cf23
	s_mov_b32 s16, s6
	v_fmac_f64_e32 v[40:41], s[6:7], v[48:49]
	v_add_f64 v[42:43], v[50:51], v[42:43]
	s_mov_b32 s11, 0x3fd3c6ef
	v_fmac_f64_e32 v[76:77], s[16:17], v[48:49]
	v_fmac_f64_e32 v[40:41], s[10:11], v[42:43]
	v_fmac_f64_e32 v[76:77], s[10:11], v[42:43]
	v_add_f64 v[42:43], v[36:37], v[24:25]
	v_add_f64 v[46:47], v[0:1], v[24:25]
	v_fmac_f64_e32 v[0:1], -0.5, v[42:43]
	v_fma_f64 v[42:43], s[14:15], v[48:49], v[0:1]
	v_add_f64 v[50:51], v[28:29], -v[24:25]
	v_add_f64 v[54:55], v[32:33], -v[36:37]
	v_fmac_f64_e32 v[0:1], s[0:1], v[48:49]
	v_fmac_f64_e32 v[42:43], s[6:7], v[44:45]
	v_add_f64 v[50:51], v[54:55], v[50:51]
	v_fmac_f64_e32 v[0:1], s[16:17], v[44:45]
	v_add_f64 v[44:45], v[30:31], v[34:35]
	v_fmac_f64_e32 v[42:43], s[10:11], v[50:51]
	v_fmac_f64_e32 v[0:1], s[10:11], v[50:51]
	v_fma_f64 v[78:79], -0.5, v[44:45], v[2:3]
	v_add_f64 v[24:25], v[24:25], -v[36:37]
	v_add_f64 v[48:49], v[26:27], -v[30:31]
	;; [unrolled: 1-line block ×3, first 2 shown]
	v_fma_f64 v[44:45], s[14:15], v[24:25], v[78:79]
	v_add_f64 v[48:49], v[50:51], v[48:49]
	v_add_f64 v[50:51], v[28:29], -v[32:33]
	v_fmac_f64_e32 v[78:79], s[0:1], v[24:25]
	v_fmac_f64_e32 v[44:45], s[16:17], v[50:51]
	;; [unrolled: 1-line block ×3, first 2 shown]
	v_add_f64 v[28:29], v[28:29], v[46:47]
	v_fmac_f64_e32 v[44:45], s[10:11], v[48:49]
	v_fmac_f64_e32 v[78:79], s[10:11], v[48:49]
	v_add_f64 v[48:49], v[2:3], v[26:27]
	v_add_f64 v[28:29], v[32:33], v[28:29]
	;; [unrolled: 1-line block ×5, first 2 shown]
	v_fmac_f64_e32 v[2:3], -0.5, v[54:55]
	v_add_f64 v[28:29], v[34:35], v[28:29]
	v_add_f64 v[46:47], v[38:39], v[28:29]
	v_add_f64 v[26:27], v[30:31], -v[26:27]
	v_fma_f64 v[48:49], s[0:1], v[50:51], v[2:3]
	v_add_f64 v[28:29], v[34:35], -v[38:39]
	v_fmac_f64_e32 v[2:3], s[14:15], v[50:51]
	v_fmac_f64_e32 v[48:49], s[16:17], v[24:25]
	v_add_f64 v[26:27], v[28:29], v[26:27]
	v_fmac_f64_e32 v[2:3], s[6:7], v[24:25]
	v_fmac_f64_e32 v[48:49], s[10:11], v[26:27]
	;; [unrolled: 1-line block ×3, first 2 shown]
	v_add_f64 v[26:27], v[12:13], v[16:17]
	v_fma_f64 v[26:27], -0.5, v[26:27], v[4:5]
	s_waitcnt lgkmcnt(0)
	v_add_f64 v[28:29], v[10:11], -v[22:23]
	v_fma_f64 v[30:31], s[0:1], v[28:29], v[26:27]
	v_add_f64 v[32:33], v[14:15], -v[18:19]
	v_add_f64 v[34:35], v[8:9], -v[12:13]
	;; [unrolled: 1-line block ×3, first 2 shown]
	v_fmac_f64_e32 v[26:27], s[14:15], v[28:29]
	v_fmac_f64_e32 v[30:31], s[6:7], v[32:33]
	v_add_f64 v[34:35], v[34:35], v[38:39]
	v_fmac_f64_e32 v[26:27], s[16:17], v[32:33]
	v_fmac_f64_e32 v[30:31], s[10:11], v[34:35]
	;; [unrolled: 1-line block ×3, first 2 shown]
	v_add_f64 v[34:35], v[8:9], v[20:21]
	v_add_f64 v[24:25], v[8:9], v[4:5]
	v_fmac_f64_e32 v[4:5], -0.5, v[34:35]
	v_fma_f64 v[34:35], s[14:15], v[32:33], v[4:5]
	v_fmac_f64_e32 v[4:5], s[0:1], v[32:33]
	v_fmac_f64_e32 v[34:35], s[6:7], v[28:29]
	v_add_f64 v[38:39], v[12:13], -v[8:9]
	v_add_f64 v[50:51], v[16:17], -v[20:21]
	v_fmac_f64_e32 v[4:5], s[16:17], v[28:29]
	v_add_f64 v[28:29], v[14:15], v[18:19]
	v_add_f64 v[38:39], v[38:39], v[50:51]
	v_fma_f64 v[28:29], -0.5, v[28:29], v[6:7]
	v_add_f64 v[32:33], v[8:9], -v[20:21]
	v_fmac_f64_e32 v[34:35], s[10:11], v[38:39]
	v_fmac_f64_e32 v[4:5], s[10:11], v[38:39]
	v_fma_f64 v[58:59], s[14:15], v[32:33], v[28:29]
	v_add_f64 v[8:9], v[10:11], -v[14:15]
	v_add_f64 v[38:39], v[22:23], -v[18:19]
	;; [unrolled: 1-line block ×3, first 2 shown]
	v_fmac_f64_e32 v[28:29], s[0:1], v[32:33]
	v_add_f64 v[8:9], v[8:9], v[38:39]
	v_fmac_f64_e32 v[58:59], s[16:17], v[50:51]
	v_fmac_f64_e32 v[28:29], s[6:7], v[50:51]
	;; [unrolled: 1-line block ×4, first 2 shown]
	v_add_f64 v[38:39], v[10:11], v[6:7]
	v_add_f64 v[8:9], v[10:11], v[22:23]
	v_fmac_f64_e32 v[6:7], -0.5, v[8:9]
	v_add_f64 v[8:9], v[12:13], v[24:25]
	v_add_f64 v[12:13], v[14:15], v[38:39]
	;; [unrolled: 1-line block ×4, first 2 shown]
	v_add_f64 v[10:11], v[14:15], -v[10:11]
	v_fma_f64 v[14:15], s[0:1], v[50:51], v[6:7]
	v_add_f64 v[12:13], v[18:19], -v[22:23]
	v_fmac_f64_e32 v[6:7], s[14:15], v[50:51]
	v_add_f64 v[10:11], v[10:11], v[12:13]
	v_fmac_f64_e32 v[6:7], s[6:7], v[32:33]
	v_fmac_f64_e32 v[14:15], s[16:17], v[32:33]
	;; [unrolled: 1-line block ×3, first 2 shown]
	s_mov_b32 s18, 0x9b97f4a8
	v_mul_f64 v[12:13], v[4:5], s[10:11]
	v_fmac_f64_e32 v[14:15], s[10:11], v[10:11]
	s_mov_b32 s19, 0x3fe9e377
	v_fma_f64 v[54:55], v[6:7], s[0:1], -v[12:13]
	v_mul_f64 v[56:57], v[30:31], s[16:17]
	v_mul_f64 v[6:7], v[6:7], s[10:11]
	v_add_f64 v[8:9], v[16:17], v[8:9]
	v_mul_f64 v[10:11], v[58:59], s[6:7]
	v_mul_f64 v[50:51], v[14:15], s[0:1]
	;; [unrolled: 1-line block ×3, first 2 shown]
	v_fmac_f64_e32 v[56:57], s[18:19], v[58:59]
	v_mul_f64 v[58:59], v[34:35], s[14:15]
	v_fma_f64 v[4:5], v[4:5], s[14:15], -v[6:7]
	v_mul_f64 v[6:7], v[28:29], s[18:19]
	v_add_f64 v[8:9], v[20:21], v[8:9]
	v_fmac_f64_e32 v[10:11], s[18:19], v[30:31]
	v_fmac_f64_e32 v[50:51], s[10:11], v[34:35]
	v_fma_f64 v[18:19], v[28:29], s[6:7], -v[12:13]
	v_fmac_f64_e32 v[58:59], s[10:11], v[14:15]
	v_fma_f64 v[6:7], v[26:27], s[16:17], -v[6:7]
	v_add_f64 v[12:13], v[76:77], v[18:19]
	v_add_f64 v[14:15], v[78:79], v[6:7]
	v_add_f64 v[16:17], v[36:37], -v[8:9]
	v_add_f64 v[20:21], v[40:41], -v[10:11]
	v_add_f64 v[24:25], v[42:43], -v[50:51]
	v_add_f64 v[32:33], v[76:77], -v[18:19]
	v_add_f64 v[34:35], v[78:79], -v[6:7]
	v_add_f64 v[28:29], v[0:1], -v[54:55]
	v_add_f64 v[18:19], v[46:47], -v[38:39]
	v_add_f64 v[22:23], v[44:45], -v[56:57]
	v_add_f64 v[26:27], v[48:49], -v[58:59]
	v_add_f64 v[30:31], v[2:3], -v[4:5]
	v_mul_lo_u16_e32 v76, 10, v67
	s_barrier
	s_and_saveexec_b64 s[0:1], vcc
	s_cbranch_execz .LBB0_7
; %bb.6:
	v_add_f64 v[38:39], v[46:47], v[38:39]
	v_add_f64 v[36:37], v[36:37], v[8:9]
	v_add_lshl_u32 v8, v60, v76, 4
	v_add_f64 v[2:3], v[2:3], v[4:5]
	v_add_f64 v[6:7], v[48:49], v[58:59]
	;; [unrolled: 1-line block ×6, first 2 shown]
	ds_write_b128 v8, v[36:39]
	ds_write_b128 v8, v[42:45] offset:16
	ds_write_b128 v8, v[4:7] offset:32
	ds_write_b128 v8, v[0:3] offset:48
	ds_write_b128 v8, v[12:15] offset:64
	ds_write_b128 v8, v[16:19] offset:80
	ds_write_b128 v8, v[20:23] offset:96
	ds_write_b128 v8, v[24:27] offset:112
	ds_write_b128 v8, v[28:31] offset:128
	ds_write_b128 v8, v[32:35] offset:144
.LBB0_7:
	s_or_b64 exec, exec, s[0:1]
	v_mad_u64_u32 v[36:37], s[4:5], v67, 48, s[4:5]
	s_load_dwordx4 s[0:3], s[2:3], 0x0
	s_waitcnt lgkmcnt(0)
	s_barrier
	global_load_dwordx4 v[8:11], v[36:37], off
	global_load_dwordx4 v[4:7], v[36:37], off offset:16
	global_load_dwordx4 v[0:3], v[36:37], off offset:32
	ds_read_b128 v[36:39], v73 offset:160
	ds_read_b128 v[40:43], v73
	ds_read_b128 v[44:47], v73 offset:320
	ds_read_b128 v[48:51], v73 offset:480
	v_lshl_add_u32 v74, v67, 4, v75
	s_waitcnt vmcnt(2) lgkmcnt(3)
	v_mul_f64 v[54:55], v[38:39], v[10:11]
	v_mul_f64 v[56:57], v[36:37], v[10:11]
	s_waitcnt vmcnt(1) lgkmcnt(1)
	v_mul_f64 v[58:59], v[46:47], v[6:7]
	v_mul_f64 v[60:61], v[44:45], v[6:7]
	;; [unrolled: 3-line block ×3, first 2 shown]
	v_fma_f64 v[36:37], v[36:37], v[8:9], -v[54:55]
	v_fmac_f64_e32 v[56:57], v[38:39], v[8:9]
	v_fma_f64 v[38:39], v[44:45], v[4:5], -v[58:59]
	v_fmac_f64_e32 v[60:61], v[46:47], v[4:5]
	;; [unrolled: 2-line block ×3, first 2 shown]
	v_add_f64 v[38:39], v[40:41], -v[38:39]
	v_add_f64 v[48:49], v[42:43], -v[60:61]
	;; [unrolled: 1-line block ×4, first 2 shown]
	v_fma_f64 v[50:51], v[40:41], 2.0, -v[38:39]
	v_fma_f64 v[54:55], v[42:43], 2.0, -v[48:49]
	;; [unrolled: 1-line block ×4, first 2 shown]
	v_add_f64 v[40:41], v[38:39], -v[46:47]
	v_add_f64 v[42:43], v[48:49], v[44:45]
	v_add_f64 v[44:45], v[50:51], -v[36:37]
	v_add_f64 v[46:47], v[54:55], -v[56:57]
	v_fma_f64 v[36:37], v[38:39], 2.0, -v[40:41]
	v_fma_f64 v[38:39], v[48:49], 2.0, -v[42:43]
	;; [unrolled: 1-line block ×4, first 2 shown]
	ds_write_b128 v74, v[40:43] offset:480
	ds_write_b128 v74, v[36:39] offset:160
	;; [unrolled: 1-line block ×3, first 2 shown]
	ds_write_b128 v74, v[48:51]
	s_waitcnt lgkmcnt(0)
	s_barrier
	s_and_saveexec_b64 s[4:5], vcc
	s_cbranch_execz .LBB0_9
; %bb.8:
	global_load_dwordx4 v[58:61], v71, s[8:9] offset:640
	ds_read_b128 v[54:57], v72
	s_add_u32 s6, s8, 0x280
	s_addc_u32 s7, s9, 0
	s_waitcnt vmcnt(0) lgkmcnt(0)
	v_mul_f64 v[78:79], v[56:57], v[60:61]
	v_mul_f64 v[80:81], v[54:55], v[60:61]
	v_fma_f64 v[78:79], v[54:55], v[58:59], -v[78:79]
	v_fmac_f64_e32 v[80:81], v[56:57], v[58:59]
	global_load_dwordx4 v[58:61], v71, s[6:7] offset:64
	ds_write_b128 v72, v[78:81]
	ds_read_b128 v[54:57], v73 offset:64
	s_waitcnt vmcnt(0) lgkmcnt(0)
	v_mul_f64 v[78:79], v[56:57], v[60:61]
	v_mul_f64 v[80:81], v[54:55], v[60:61]
	v_fma_f64 v[78:79], v[54:55], v[58:59], -v[78:79]
	v_fmac_f64_e32 v[80:81], v[56:57], v[58:59]
	global_load_dwordx4 v[58:61], v71, s[6:7] offset:128
	ds_write_b128 v73, v[78:81] offset:64
	ds_read_b128 v[54:57], v74 offset:128
	s_waitcnt vmcnt(0) lgkmcnt(0)
	v_mul_f64 v[78:79], v[56:57], v[60:61]
	v_mul_f64 v[80:81], v[54:55], v[60:61]
	v_fma_f64 v[78:79], v[54:55], v[58:59], -v[78:79]
	v_fmac_f64_e32 v[80:81], v[56:57], v[58:59]
	global_load_dwordx4 v[58:61], v71, s[6:7] offset:192
	ds_read_b128 v[54:57], v74 offset:192
	ds_write_b128 v74, v[78:81] offset:128
	s_waitcnt vmcnt(0) lgkmcnt(1)
	v_mul_f64 v[78:79], v[56:57], v[60:61]
	v_mul_f64 v[80:81], v[54:55], v[60:61]
	v_fma_f64 v[78:79], v[54:55], v[58:59], -v[78:79]
	v_fmac_f64_e32 v[80:81], v[56:57], v[58:59]
	global_load_dwordx4 v[58:61], v71, s[6:7] offset:256
	ds_read_b128 v[54:57], v74 offset:256
	ds_write_b128 v74, v[78:81] offset:192
	;; [unrolled: 8-line block ×7, first 2 shown]
	s_waitcnt vmcnt(0) lgkmcnt(1)
	v_mul_f64 v[78:79], v[56:57], v[60:61]
	v_mul_f64 v[80:81], v[54:55], v[60:61]
	v_fma_f64 v[78:79], v[54:55], v[58:59], -v[78:79]
	v_fmac_f64_e32 v[80:81], v[56:57], v[58:59]
	ds_write_b128 v74, v[78:81] offset:576
.LBB0_9:
	s_or_b64 exec, exec, s[4:5]
	s_waitcnt lgkmcnt(0)
	s_barrier
	s_and_saveexec_b64 s[4:5], vcc
	s_cbranch_execz .LBB0_11
; %bb.10:
	ds_read_b128 v[48:51], v72
	ds_read_b128 v[36:39], v72 offset:64
	ds_read_b128 v[44:47], v74 offset:128
	;; [unrolled: 1-line block ×9, first 2 shown]
.LBB0_11:
	s_or_b64 exec, exec, s[4:5]
	s_waitcnt lgkmcnt(0)
	s_barrier
	s_and_saveexec_b64 s[4:5], vcc
	s_cbranch_execz .LBB0_13
; %bb.12:
	v_add_f64 v[58:59], v[40:41], -v[16:17]
	v_add_f64 v[60:61], v[32:33], -v[24:25]
	v_add_f64 v[84:85], v[58:59], v[60:61]
	v_add_f64 v[60:61], v[42:43], -v[18:19]
	v_add_f64 v[92:93], v[34:35], -v[26:27]
	v_add_f64 v[92:93], v[60:61], v[92:93]
	v_add_f64 v[60:61], v[18:19], v[26:27]
	v_fma_f64 v[94:95], -0.5, v[60:61], v[38:39]
	v_add_f64 v[60:61], v[14:15], -v[46:47]
	v_add_f64 v[100:101], v[22:23], -v[30:31]
	s_mov_b32 s14, 0x134454ff
	v_add_f64 v[100:101], v[100:101], v[60:61]
	v_add_f64 v[60:61], v[30:31], v[46:47]
	s_mov_b32 s15, 0xbfee6f0e
	v_add_f64 v[82:83], v[12:13], -v[20:21]
	s_mov_b32 s6, 0x4755a5e
	s_mov_b32 s19, 0x3fee6f0e
	;; [unrolled: 1-line block ×3, first 2 shown]
	v_fma_f64 v[60:61], -0.5, v[60:61], v[50:51]
	v_add_f64 v[104:105], v[16:17], -v[40:41]
	v_add_f64 v[106:107], v[24:25], -v[32:33]
	;; [unrolled: 1-line block ×3, first 2 shown]
	s_mov_b32 s7, 0xbfe2cf23
	s_mov_b32 s17, 0x3fe2cf23
	;; [unrolled: 1-line block ×3, first 2 shown]
	v_fma_f64 v[102:103], s[18:19], v[82:83], v[60:61]
	v_add_f64 v[104:105], v[104:105], v[106:107]
	v_add_f64 v[106:107], v[40:41], v[32:33]
	v_fmac_f64_e32 v[60:61], s[14:15], v[82:83]
	v_add_f64 v[90:91], v[18:19], -v[26:27]
	v_fmac_f64_e32 v[102:103], s[6:7], v[80:81]
	v_fma_f64 v[106:107], -0.5, v[106:107], v[36:37]
	v_add_f64 v[108:109], v[18:19], -v[42:43]
	v_add_f64 v[110:111], v[26:27], -v[34:35]
	v_fmac_f64_e32 v[60:61], s[16:17], v[80:81]
	v_add_f64 v[54:55], v[46:47], -v[14:15]
	v_add_f64 v[56:57], v[30:31], -v[22:23]
	;; [unrolled: 1-line block ×3, first 2 shown]
	v_fmac_f64_e32 v[102:103], s[10:11], v[100:101]
	v_add_f64 v[108:109], v[108:109], v[110:111]
	v_fma_f64 v[110:111], s[14:15], v[90:91], v[106:107]
	v_fmac_f64_e32 v[60:61], s[10:11], v[100:101]
	v_add_f64 v[100:101], v[42:43], v[34:35]
	v_fmac_f64_e32 v[106:107], s[18:19], v[90:91]
	v_add_f64 v[78:79], v[56:57], v[54:55]
	v_add_f64 v[54:55], v[14:15], v[22:23]
	v_add_f64 v[98:99], v[16:17], -v[24:25]
	v_fmac_f64_e32 v[110:111], s[16:17], v[86:87]
	v_fma_f64 v[100:101], -0.5, v[100:101], v[38:39]
	v_fmac_f64_e32 v[106:107], s[6:7], v[86:87]
	v_fma_f64 v[54:55], -0.5, v[54:55], v[50:51]
	v_add_f64 v[96:97], v[40:41], -v[32:33]
	v_fmac_f64_e32 v[110:111], s[10:11], v[104:105]
	v_fmac_f64_e32 v[106:107], s[10:11], v[104:105]
	v_fma_f64 v[104:105], s[18:19], v[98:99], v[100:101]
	v_fmac_f64_e32 v[100:101], s[14:15], v[98:99]
	v_fma_f64 v[56:57], s[14:15], v[80:81], v[54:55]
	v_add_f64 v[58:59], v[16:17], v[24:25]
	v_fmac_f64_e32 v[104:105], s[6:7], v[96:97]
	v_fmac_f64_e32 v[100:101], s[16:17], v[96:97]
	;; [unrolled: 1-line block ×4, first 2 shown]
	v_fma_f64 v[58:59], -0.5, v[58:59], v[36:37]
	v_fmac_f64_e32 v[104:105], s[10:11], v[108:109]
	v_fmac_f64_e32 v[100:101], s[10:11], v[108:109]
	v_fma_f64 v[108:109], s[14:15], v[96:97], v[94:95]
	v_fmac_f64_e32 v[54:55], s[16:17], v[82:83]
	v_fmac_f64_e32 v[56:57], s[10:11], v[78:79]
	v_fma_f64 v[88:89], s[18:19], v[86:87], v[58:59]
	v_fmac_f64_e32 v[108:109], s[6:7], v[98:99]
	s_mov_b32 s20, 0x9b97f4a8
	v_fmac_f64_e32 v[54:55], s[10:11], v[78:79]
	v_fmac_f64_e32 v[94:95], s[18:19], v[96:97]
	v_add_f64 v[78:79], v[44:45], -v[12:13]
	v_add_f64 v[82:83], v[28:29], -v[20:21]
	v_fmac_f64_e32 v[88:89], s[16:17], v[90:91]
	v_fmac_f64_e32 v[108:109], s[10:11], v[92:93]
	s_mov_b32 s21, 0xbfe9e377
	v_fmac_f64_e32 v[58:59], s[14:15], v[86:87]
	v_fmac_f64_e32 v[94:95], s[16:17], v[98:99]
	v_add_f64 v[78:79], v[82:83], v[78:79]
	v_add_f64 v[82:83], v[12:13], v[20:21]
	v_fmac_f64_e32 v[88:89], s[10:11], v[84:85]
	v_mul_f64 v[112:113], v[108:109], s[20:21]
	v_fmac_f64_e32 v[58:59], s[6:7], v[90:91]
	v_fmac_f64_e32 v[94:95], s[10:11], v[92:93]
	v_fma_f64 v[90:91], -0.5, v[82:83], v[48:49]
	v_mul_f64 v[92:93], v[108:109], s[6:7]
	v_add_f64 v[82:83], v[28:29], v[44:45]
	v_fmac_f64_e32 v[112:113], s[16:17], v[88:89]
	v_fmac_f64_e32 v[92:93], s[20:21], v[88:89]
	v_fma_f64 v[88:89], -0.5, v[82:83], v[48:49]
	v_add_f64 v[48:49], v[48:49], v[44:45]
	v_add_f64 v[44:45], v[12:13], -v[44:45]
	v_add_f64 v[82:83], v[20:21], -v[28:29]
	s_mov_b32 s23, 0xbfd3c6ef
	s_mov_b32 s22, s10
	v_add_f64 v[50:51], v[50:51], v[46:47]
	v_add_f64 v[44:45], v[82:83], v[44:45]
	v_add_f64 v[82:83], v[14:15], -v[22:23]
	v_mul_f64 v[86:87], v[104:105], s[22:23]
	v_add_f64 v[46:47], v[46:47], -v[30:31]
	v_mul_f64 v[96:97], v[104:105], s[14:15]
	v_fma_f64 v[98:99], s[14:15], v[82:83], v[88:89]
	v_fmac_f64_e32 v[88:89], s[18:19], v[82:83]
	v_mul_f64 v[104:105], v[100:101], s[10:11]
	v_mul_f64 v[100:101], v[100:101], s[14:15]
	s_mov_b32 s21, 0x3fe9e377
	v_add_f64 v[50:51], v[14:15], v[50:51]
	v_add_f64 v[12:13], v[12:13], v[48:49]
	v_fmac_f64_e32 v[58:59], s[10:11], v[84:85]
	v_fmac_f64_e32 v[98:99], s[16:17], v[46:47]
	;; [unrolled: 1-line block ×5, first 2 shown]
	v_fma_f64 v[106:107], s[18:19], v[46:47], v[90:91]
	v_fmac_f64_e32 v[90:91], s[14:15], v[46:47]
	v_mul_f64 v[46:47], v[94:95], s[20:21]
	v_add_f64 v[22:23], v[22:23], v[50:51]
	v_mul_f64 v[50:51], v[94:95], s[6:7]
	v_add_f64 v[20:21], v[20:21], v[12:13]
	v_fmac_f64_e32 v[46:47], s[16:17], v[58:59]
	v_add_f64 v[48:49], v[30:31], v[22:23]
	v_fmac_f64_e32 v[50:51], s[20:21], v[58:59]
	v_add_f64 v[22:23], v[42:43], v[38:39]
	v_add_f64 v[58:59], v[28:29], v[20:21]
	;; [unrolled: 1-line block ×7, first 2 shown]
	v_fmac_f64_e32 v[106:107], s[16:17], v[82:83]
	v_fmac_f64_e32 v[90:91], s[6:7], v[82:83]
	v_add_f64 v[38:39], v[34:35], v[18:19]
	v_add_f64 v[36:37], v[32:33], v[16:17]
	v_fmac_f64_e32 v[86:87], s[18:19], v[110:111]
	v_fmac_f64_e32 v[96:97], s[22:23], v[110:111]
	;; [unrolled: 1-line block ×6, first 2 shown]
	v_add_f64 v[18:19], v[48:49], -v[38:39]
	v_add_f64 v[16:17], v[58:59], -v[36:37]
	v_add_f64 v[38:39], v[48:49], v[38:39]
	v_add_f64 v[36:37], v[58:59], v[36:37]
	v_lshl_add_u32 v40, v76, 4, v75
	v_add_f64 v[80:81], v[56:57], -v[112:113]
	v_add_f64 v[84:85], v[102:103], -v[86:87]
	;; [unrolled: 1-line block ×8, first 2 shown]
	v_add_f64 v[22:23], v[56:57], v[112:113]
	v_add_f64 v[26:27], v[102:103], v[86:87]
	;; [unrolled: 1-line block ×8, first 2 shown]
	ds_write_b128 v40, v[36:39]
	ds_write_b128 v40, v[32:35] offset:16
	ds_write_b128 v40, v[28:31] offset:32
	;; [unrolled: 1-line block ×9, first 2 shown]
.LBB0_13:
	s_or_b64 exec, exec, s[4:5]
	s_waitcnt lgkmcnt(0)
	s_barrier
	ds_read_b128 v[12:15], v73 offset:160
	ds_read_b128 v[16:19], v73
	ds_read_b128 v[20:23], v73 offset:320
	ds_read_b128 v[24:27], v73 offset:480
	s_waitcnt lgkmcnt(3)
	v_mul_f64 v[28:29], v[10:11], v[14:15]
	v_mul_f64 v[10:11], v[10:11], v[12:13]
	v_fmac_f64_e32 v[28:29], v[8:9], v[12:13]
	v_fma_f64 v[8:9], v[8:9], v[14:15], -v[10:11]
	s_waitcnt lgkmcnt(1)
	v_mul_f64 v[10:11], v[6:7], v[22:23]
	v_mul_f64 v[6:7], v[6:7], v[20:21]
	v_fmac_f64_e32 v[10:11], v[4:5], v[20:21]
	v_fma_f64 v[4:5], v[4:5], v[22:23], -v[6:7]
	;; [unrolled: 5-line block ×3, first 2 shown]
	v_add_f64 v[12:13], v[16:17], -v[10:11]
	v_add_f64 v[14:15], v[18:19], -v[4:5]
	v_fma_f64 v[4:5], v[16:17], 2.0, -v[12:13]
	v_fma_f64 v[10:11], v[18:19], 2.0, -v[14:15]
	v_add_f64 v[16:17], v[28:29], -v[6:7]
	v_add_f64 v[18:19], v[8:9], -v[0:1]
	v_fma_f64 v[0:1], v[28:29], 2.0, -v[16:17]
	v_fma_f64 v[2:3], v[8:9], 2.0, -v[18:19]
	;; [unrolled: 4-line block ×3, first 2 shown]
	v_add_f64 v[8:9], v[12:13], v[18:19]
	v_add_f64 v[10:11], v[14:15], -v[16:17]
	v_fma_f64 v[12:13], v[12:13], 2.0, -v[8:9]
	v_fma_f64 v[14:15], v[14:15], 2.0, -v[10:11]
	ds_write_b128 v74, v[4:7]
	ds_write_b128 v74, v[12:15] offset:160
	ds_write_b128 v74, v[0:3] offset:320
	;; [unrolled: 1-line block ×3, first 2 shown]
	s_waitcnt lgkmcnt(0)
	s_barrier
	s_and_b64 exec, exec, vcc
	s_cbranch_execz .LBB0_15
; %bb.14:
	global_load_dwordx4 v[0:3], v71, s[8:9]
	global_load_dwordx4 v[4:7], v71, s[8:9] offset:64
	global_load_dwordx4 v[8:11], v71, s[8:9] offset:128
	;; [unrolled: 1-line block ×4, first 2 shown]
	ds_read_b128 v[20:23], v72
	ds_read_b128 v[24:27], v74 offset:64
	ds_read_b128 v[28:31], v74 offset:128
	global_load_dwordx4 v[32:35], v71, s[8:9] offset:320
	ds_read_b128 v[36:39], v74 offset:192
	ds_read_b128 v[40:43], v74 offset:256
	global_load_dwordx4 v[44:47], v71, s[8:9] offset:384
	global_load_dwordx4 v[48:51], v71, s[8:9] offset:448
	;; [unrolled: 1-line block ×4, first 2 shown]
	v_mad_u64_u32 v[78:79], s[4:5], s2, v52, 0
	v_mad_u64_u32 v[72:73], s[6:7], s0, v67, 0
	;; [unrolled: 1-line block ×5, first 2 shown]
	v_mov_b32_e32 v86, v79
	v_mov_b32_e32 v88, v73
	;; [unrolled: 1-line block ×5, first 2 shown]
	v_mad_u64_u32 v[86:87], s[2:3], s3, v52, v[86:87]
	v_mov_b32_e32 v76, s12
	v_mov_b32_e32 v77, s13
	v_mad_u64_u32 v[88:89], s[2:3], s1, v67, v[88:89]
	v_mad_u64_u32 v[90:91], s[2:3], s1, v68, v[90:91]
	;; [unrolled: 1-line block ×4, first 2 shown]
	v_mov_b32_e32 v79, v86
	v_mov_b32_e32 v73, v88
	;; [unrolled: 1-line block ×5, first 2 shown]
	v_lshl_add_u64 v[68:69], v[78:79], 4, v[76:77]
	s_mov_b32 s4, 0x9999999a
	v_lshl_add_u64 v[70:71], v[72:73], 4, v[68:69]
	v_lshl_add_u64 v[72:73], v[80:81], 4, v[68:69]
	;; [unrolled: 1-line block ×3, first 2 shown]
	s_mov_b32 s5, 0x3f999999
	v_lshl_add_u64 v[76:77], v[82:83], 4, v[68:69]
	s_waitcnt vmcnt(9) lgkmcnt(4)
	v_mul_f64 v[80:81], v[22:23], v[2:3]
	v_mul_f64 v[2:3], v[20:21], v[2:3]
	s_waitcnt vmcnt(7) lgkmcnt(2)
	v_mul_f64 v[84:85], v[30:31], v[10:11]
	v_mul_f64 v[82:83], v[26:27], v[6:7]
	;; [unrolled: 1-line block ×4, first 2 shown]
	s_waitcnt vmcnt(6) lgkmcnt(1)
	v_mul_f64 v[86:87], v[38:39], v[14:15]
	v_mul_f64 v[14:15], v[36:37], v[14:15]
	v_fmac_f64_e32 v[80:81], v[20:21], v[0:1]
	v_fma_f64 v[2:3], v[0:1], v[22:23], -v[2:3]
	v_fmac_f64_e32 v[84:85], v[28:29], v[8:9]
	v_fmac_f64_e32 v[82:83], v[24:25], v[4:5]
	v_fma_f64 v[6:7], v[4:5], v[26:27], -v[6:7]
	v_fma_f64 v[10:11], v[8:9], v[30:31], -v[10:11]
	v_fmac_f64_e32 v[86:87], v[36:37], v[12:13]
	v_fma_f64 v[14:15], v[12:13], v[38:39], -v[14:15]
	v_mul_f64 v[0:1], v[80:81], s[4:5]
	v_mul_f64 v[2:3], v[2:3], s[4:5]
	v_mul_f64 v[8:9], v[84:85], s[4:5]
	v_mul_f64 v[4:5], v[82:83], s[4:5]
	v_mul_f64 v[6:7], v[6:7], s[4:5]
	v_mul_f64 v[10:11], v[10:11], s[4:5]
	v_mul_f64 v[12:13], v[86:87], s[4:5]
	v_mul_f64 v[14:15], v[14:15], s[4:5]
	global_store_dwordx4 v[70:71], v[0:3], off
	global_store_dwordx4 v[72:73], v[4:7], off
	;; [unrolled: 1-line block ×4, first 2 shown]
	s_waitcnt vmcnt(9) lgkmcnt(0)
	v_mul_f64 v[88:89], v[42:43], v[18:19]
	v_mad_u64_u32 v[8:9], s[2:3], s0, v66, 0
	v_mov_b32_e32 v4, v9
	v_mad_u64_u32 v[10:11], s[2:3], s1, v66, v[4:5]
	ds_read_b128 v[4:7], v74 offset:320
	v_mul_f64 v[2:3], v[40:41], v[18:19]
	v_fmac_f64_e32 v[88:89], v[40:41], v[16:17]
	v_fma_f64 v[2:3], v[16:17], v[42:43], -v[2:3]
	v_mov_b32_e32 v9, v10
	v_mul_f64 v[0:1], v[88:89], s[4:5]
	v_mul_f64 v[2:3], v[2:3], s[4:5]
	v_lshl_add_u64 v[8:9], v[8:9], 4, v[68:69]
	global_store_dwordx4 v[8:9], v[0:3], off
	ds_read_b128 v[0:3], v74 offset:384
	s_waitcnt vmcnt(9) lgkmcnt(1)
	v_mul_f64 v[8:9], v[6:7], v[34:35]
	v_fmac_f64_e32 v[8:9], v[4:5], v[32:33]
	v_mul_f64 v[4:5], v[4:5], v[34:35]
	v_fma_f64 v[4:5], v[32:33], v[6:7], -v[4:5]
	v_mul_f64 v[10:11], v[4:5], s[4:5]
	v_mad_u64_u32 v[4:5], s[2:3], s0, v65, 0
	v_mov_b32_e32 v6, v5
	v_mad_u64_u32 v[6:7], s[2:3], s1, v65, v[6:7]
	v_mov_b32_e32 v5, v6
	v_mul_f64 v[8:9], v[8:9], s[4:5]
	v_lshl_add_u64 v[4:5], v[4:5], 4, v[68:69]
	global_store_dwordx4 v[4:5], v[8:11], off
	s_waitcnt vmcnt(9) lgkmcnt(0)
	v_mul_f64 v[4:5], v[2:3], v[46:47]
	v_fmac_f64_e32 v[4:5], v[0:1], v[44:45]
	v_mul_f64 v[0:1], v[0:1], v[46:47]
	v_fma_f64 v[0:1], v[44:45], v[2:3], -v[0:1]
	v_mad_u64_u32 v[8:9], s[2:3], s0, v64, 0
	v_mul_f64 v[6:7], v[0:1], s[4:5]
	v_mov_b32_e32 v0, v9
	v_mad_u64_u32 v[10:11], s[2:3], s1, v64, v[0:1]
	ds_read_b128 v[0:3], v74 offset:448
	v_mov_b32_e32 v9, v10
	v_mul_f64 v[4:5], v[4:5], s[4:5]
	v_lshl_add_u64 v[8:9], v[8:9], 4, v[68:69]
	global_store_dwordx4 v[8:9], v[4:7], off
	ds_read_b128 v[4:7], v74 offset:512
	s_waitcnt vmcnt(9) lgkmcnt(1)
	v_mul_f64 v[8:9], v[2:3], v[50:51]
	v_fmac_f64_e32 v[8:9], v[0:1], v[48:49]
	v_mul_f64 v[0:1], v[0:1], v[50:51]
	v_fma_f64 v[0:1], v[48:49], v[2:3], -v[0:1]
	v_mul_f64 v[10:11], v[0:1], s[4:5]
	v_mad_u64_u32 v[0:1], s[2:3], s0, v63, 0
	v_mov_b32_e32 v2, v1
	v_mad_u64_u32 v[2:3], s[2:3], s1, v63, v[2:3]
	v_mov_b32_e32 v1, v2
	v_mul_f64 v[8:9], v[8:9], s[4:5]
	v_lshl_add_u64 v[0:1], v[0:1], 4, v[68:69]
	global_store_dwordx4 v[0:1], v[8:11], off
	s_waitcnt vmcnt(9) lgkmcnt(0)
	v_mul_f64 v[0:1], v[6:7], v[56:57]
	v_mul_f64 v[2:3], v[4:5], v[56:57]
	v_fmac_f64_e32 v[0:1], v[4:5], v[54:55]
	v_fma_f64 v[2:3], v[54:55], v[6:7], -v[2:3]
	v_mad_u64_u32 v[8:9], s[2:3], s0, v62, 0
	ds_read_b128 v[4:7], v74 offset:576
	v_mov_b32_e32 v10, v9
	v_mad_u64_u32 v[10:11], s[2:3], s1, v62, v[10:11]
	v_mov_b32_e32 v9, v10
	v_mul_f64 v[0:1], v[0:1], s[4:5]
	v_mul_f64 v[2:3], v[2:3], s[4:5]
	v_lshl_add_u64 v[8:9], v[8:9], 4, v[68:69]
	global_store_dwordx4 v[8:9], v[0:3], off
	s_waitcnt vmcnt(9) lgkmcnt(0)
	s_nop 0
	v_mul_f64 v[0:1], v[6:7], v[60:61]
	v_fmac_f64_e32 v[0:1], v[4:5], v[58:59]
	v_mul_f64 v[2:3], v[4:5], v[60:61]
	v_mad_u64_u32 v[4:5], s[2:3], s0, v53, 0
	v_fma_f64 v[2:3], v[58:59], v[6:7], -v[2:3]
	v_mov_b32_e32 v6, v5
	v_mad_u64_u32 v[6:7], s[0:1], s1, v53, v[6:7]
	v_mov_b32_e32 v5, v6
	v_mul_f64 v[0:1], v[0:1], s[4:5]
	v_mul_f64 v[2:3], v[2:3], s[4:5]
	v_lshl_add_u64 v[4:5], v[4:5], 4, v[68:69]
	global_store_dwordx4 v[4:5], v[0:3], off
.LBB0_15:
	s_endpgm
	.section	.rodata,"a",@progbits
	.p2align	6, 0x0
	.amdhsa_kernel bluestein_single_fwd_len40_dim1_dp_op_CI_CI
		.amdhsa_group_segment_fixed_size 7680
		.amdhsa_private_segment_fixed_size 0
		.amdhsa_kernarg_size 104
		.amdhsa_user_sgpr_count 2
		.amdhsa_user_sgpr_dispatch_ptr 0
		.amdhsa_user_sgpr_queue_ptr 0
		.amdhsa_user_sgpr_kernarg_segment_ptr 1
		.amdhsa_user_sgpr_dispatch_id 0
		.amdhsa_user_sgpr_kernarg_preload_length 0
		.amdhsa_user_sgpr_kernarg_preload_offset 0
		.amdhsa_user_sgpr_private_segment_size 0
		.amdhsa_uses_dynamic_stack 0
		.amdhsa_enable_private_segment 0
		.amdhsa_system_sgpr_workgroup_id_x 1
		.amdhsa_system_sgpr_workgroup_id_y 0
		.amdhsa_system_sgpr_workgroup_id_z 0
		.amdhsa_system_sgpr_workgroup_info 0
		.amdhsa_system_vgpr_workitem_id 0
		.amdhsa_next_free_vgpr 114
		.amdhsa_next_free_sgpr 24
		.amdhsa_accum_offset 116
		.amdhsa_reserve_vcc 1
		.amdhsa_float_round_mode_32 0
		.amdhsa_float_round_mode_16_64 0
		.amdhsa_float_denorm_mode_32 3
		.amdhsa_float_denorm_mode_16_64 3
		.amdhsa_dx10_clamp 1
		.amdhsa_ieee_mode 1
		.amdhsa_fp16_overflow 0
		.amdhsa_tg_split 0
		.amdhsa_exception_fp_ieee_invalid_op 0
		.amdhsa_exception_fp_denorm_src 0
		.amdhsa_exception_fp_ieee_div_zero 0
		.amdhsa_exception_fp_ieee_overflow 0
		.amdhsa_exception_fp_ieee_underflow 0
		.amdhsa_exception_fp_ieee_inexact 0
		.amdhsa_exception_int_div_zero 0
	.end_amdhsa_kernel
	.text
.Lfunc_end0:
	.size	bluestein_single_fwd_len40_dim1_dp_op_CI_CI, .Lfunc_end0-bluestein_single_fwd_len40_dim1_dp_op_CI_CI
                                        ; -- End function
	.section	.AMDGPU.csdata,"",@progbits
; Kernel info:
; codeLenInByte = 6104
; NumSgprs: 30
; NumVgprs: 114
; NumAgprs: 0
; TotalNumVgprs: 114
; ScratchSize: 0
; MemoryBound: 0
; FloatMode: 240
; IeeeMode: 1
; LDSByteSize: 7680 bytes/workgroup (compile time only)
; SGPRBlocks: 3
; VGPRBlocks: 14
; NumSGPRsForWavesPerEU: 30
; NumVGPRsForWavesPerEU: 114
; AccumOffset: 116
; Occupancy: 4
; WaveLimiterHint : 1
; COMPUTE_PGM_RSRC2:SCRATCH_EN: 0
; COMPUTE_PGM_RSRC2:USER_SGPR: 2
; COMPUTE_PGM_RSRC2:TRAP_HANDLER: 0
; COMPUTE_PGM_RSRC2:TGID_X_EN: 1
; COMPUTE_PGM_RSRC2:TGID_Y_EN: 0
; COMPUTE_PGM_RSRC2:TGID_Z_EN: 0
; COMPUTE_PGM_RSRC2:TIDIG_COMP_CNT: 0
; COMPUTE_PGM_RSRC3_GFX90A:ACCUM_OFFSET: 28
; COMPUTE_PGM_RSRC3_GFX90A:TG_SPLIT: 0
	.text
	.p2alignl 6, 3212836864
	.fill 256, 4, 3212836864
	.type	__hip_cuid_1935b144d267ae66,@object ; @__hip_cuid_1935b144d267ae66
	.section	.bss,"aw",@nobits
	.globl	__hip_cuid_1935b144d267ae66
__hip_cuid_1935b144d267ae66:
	.byte	0                               ; 0x0
	.size	__hip_cuid_1935b144d267ae66, 1

	.ident	"AMD clang version 19.0.0git (https://github.com/RadeonOpenCompute/llvm-project roc-6.4.0 25133 c7fe45cf4b819c5991fe208aaa96edf142730f1d)"
	.section	".note.GNU-stack","",@progbits
	.addrsig
	.addrsig_sym __hip_cuid_1935b144d267ae66
	.amdgpu_metadata
---
amdhsa.kernels:
  - .agpr_count:     0
    .args:
      - .actual_access:  read_only
        .address_space:  global
        .offset:         0
        .size:           8
        .value_kind:     global_buffer
      - .actual_access:  read_only
        .address_space:  global
        .offset:         8
        .size:           8
        .value_kind:     global_buffer
      - .actual_access:  read_only
        .address_space:  global
        .offset:         16
        .size:           8
        .value_kind:     global_buffer
      - .actual_access:  read_only
        .address_space:  global
        .offset:         24
        .size:           8
        .value_kind:     global_buffer
      - .actual_access:  read_only
        .address_space:  global
        .offset:         32
        .size:           8
        .value_kind:     global_buffer
      - .offset:         40
        .size:           8
        .value_kind:     by_value
      - .address_space:  global
        .offset:         48
        .size:           8
        .value_kind:     global_buffer
      - .address_space:  global
        .offset:         56
        .size:           8
        .value_kind:     global_buffer
      - .address_space:  global
        .offset:         64
        .size:           8
        .value_kind:     global_buffer
      - .address_space:  global
        .offset:         72
        .size:           8
        .value_kind:     global_buffer
      - .offset:         80
        .size:           4
        .value_kind:     by_value
      - .address_space:  global
        .offset:         88
        .size:           8
        .value_kind:     global_buffer
      - .address_space:  global
        .offset:         96
        .size:           8
        .value_kind:     global_buffer
    .group_segment_fixed_size: 7680
    .kernarg_segment_align: 8
    .kernarg_segment_size: 104
    .language:       OpenCL C
    .language_version:
      - 2
      - 0
    .max_flat_workgroup_size: 120
    .name:           bluestein_single_fwd_len40_dim1_dp_op_CI_CI
    .private_segment_fixed_size: 0
    .sgpr_count:     30
    .sgpr_spill_count: 0
    .symbol:         bluestein_single_fwd_len40_dim1_dp_op_CI_CI.kd
    .uniform_work_group_size: 1
    .uses_dynamic_stack: false
    .vgpr_count:     114
    .vgpr_spill_count: 0
    .wavefront_size: 64
amdhsa.target:   amdgcn-amd-amdhsa--gfx950
amdhsa.version:
  - 1
  - 2
...

	.end_amdgpu_metadata
